;; amdgpu-corpus repo=ROCm/rocFFT kind=compiled arch=gfx950 opt=O3
	.text
	.amdgcn_target "amdgcn-amd-amdhsa--gfx950"
	.amdhsa_code_object_version 6
	.protected	fft_rtc_back_len44_factors_11_4_wgs_64_tpt_4_halfLds_sp_op_CI_CI_sbrr_dirReg ; -- Begin function fft_rtc_back_len44_factors_11_4_wgs_64_tpt_4_halfLds_sp_op_CI_CI_sbrr_dirReg
	.globl	fft_rtc_back_len44_factors_11_4_wgs_64_tpt_4_halfLds_sp_op_CI_CI_sbrr_dirReg
	.p2align	8
	.type	fft_rtc_back_len44_factors_11_4_wgs_64_tpt_4_halfLds_sp_op_CI_CI_sbrr_dirReg,@function
fft_rtc_back_len44_factors_11_4_wgs_64_tpt_4_halfLds_sp_op_CI_CI_sbrr_dirReg: ; @fft_rtc_back_len44_factors_11_4_wgs_64_tpt_4_halfLds_sp_op_CI_CI_sbrr_dirReg
; %bb.0:
	s_load_dwordx4 s[12:15], s[0:1], 0x18
	s_load_dwordx4 s[4:7], s[0:1], 0x0
	;; [unrolled: 1-line block ×3, first 2 shown]
	v_lshrrev_b32_e32 v20, 2, v0
	v_lshl_or_b32 v10, s2, 4, v20
	s_waitcnt lgkmcnt(0)
	s_load_dwordx2 s[18:19], s[12:13], 0x0
	s_load_dwordx2 s[16:17], s[14:15], 0x0
	v_mov_b32_e32 v8, 0
	v_cmp_lt_u64_e64 s[2:3], s[6:7], 2
	v_mov_b32_e32 v11, v8
	s_and_b64 vcc, exec, s[2:3]
	v_mov_b64_e32 v[6:7], 0
	s_cbranch_vccnz .LBB0_8
; %bb.1:
	s_load_dwordx2 s[2:3], s[0:1], 0x10
	s_add_u32 s20, s14, 8
	s_addc_u32 s21, s15, 0
	s_add_u32 s22, s12, 8
	s_addc_u32 s23, s13, 0
	s_waitcnt lgkmcnt(0)
	s_add_u32 s24, s2, 8
	v_mov_b64_e32 v[6:7], 0
	s_addc_u32 s25, s3, 0
	s_mov_b64 s[26:27], 1
	v_mov_b64_e32 v[2:3], v[6:7]
.LBB0_2:                                ; =>This Inner Loop Header: Depth=1
	s_load_dwordx2 s[28:29], s[24:25], 0x0
                                        ; implicit-def: $vgpr4_vgpr5
	s_waitcnt lgkmcnt(0)
	v_or_b32_e32 v9, s29, v11
	v_cmp_ne_u64_e32 vcc, 0, v[8:9]
	s_and_saveexec_b64 s[2:3], vcc
	s_xor_b64 s[30:31], exec, s[2:3]
	s_cbranch_execz .LBB0_4
; %bb.3:                                ;   in Loop: Header=BB0_2 Depth=1
	v_cvt_f32_u32_e32 v1, s28
	v_cvt_f32_u32_e32 v4, s29
	s_sub_u32 s2, 0, s28
	s_subb_u32 s3, 0, s29
	v_fmac_f32_e32 v1, 0x4f800000, v4
	v_rcp_f32_e32 v1, v1
	s_nop 0
	v_mul_f32_e32 v1, 0x5f7ffffc, v1
	v_mul_f32_e32 v4, 0x2f800000, v1
	v_trunc_f32_e32 v4, v4
	v_fmac_f32_e32 v1, 0xcf800000, v4
	v_cvt_u32_f32_e32 v9, v4
	v_cvt_u32_f32_e32 v1, v1
	v_mul_lo_u32 v4, s2, v9
	v_mul_hi_u32 v12, s2, v1
	v_mul_lo_u32 v5, s3, v1
	v_add_u32_e32 v12, v12, v4
	v_mul_lo_u32 v14, s2, v1
	v_add_u32_e32 v15, v12, v5
	v_mul_hi_u32 v4, v1, v14
	v_mul_hi_u32 v13, v1, v15
	v_mul_lo_u32 v12, v1, v15
	v_mov_b32_e32 v5, v8
	v_lshl_add_u64 v[4:5], v[4:5], 0, v[12:13]
	v_mul_hi_u32 v13, v9, v14
	v_mul_lo_u32 v14, v9, v14
	v_add_co_u32_e32 v4, vcc, v4, v14
	v_mul_hi_u32 v12, v9, v15
	s_nop 0
	v_addc_co_u32_e32 v4, vcc, v5, v13, vcc
	v_mov_b32_e32 v5, v8
	s_nop 0
	v_addc_co_u32_e32 v13, vcc, 0, v12, vcc
	v_mul_lo_u32 v12, v9, v15
	v_lshl_add_u64 v[4:5], v[4:5], 0, v[12:13]
	v_add_co_u32_e32 v1, vcc, v1, v4
	v_mul_lo_u32 v12, s2, v1
	s_nop 0
	v_addc_co_u32_e32 v9, vcc, v9, v5, vcc
	v_mul_lo_u32 v4, s2, v9
	v_mul_hi_u32 v5, s2, v1
	v_add_u32_e32 v4, v5, v4
	v_mul_lo_u32 v5, s3, v1
	v_add_u32_e32 v14, v4, v5
	v_mul_hi_u32 v16, v9, v12
	v_mul_lo_u32 v17, v9, v12
	v_mul_hi_u32 v5, v1, v14
	v_mul_lo_u32 v4, v1, v14
	v_mul_hi_u32 v12, v1, v12
	v_mov_b32_e32 v13, v8
	v_lshl_add_u64 v[4:5], v[12:13], 0, v[4:5]
	v_add_co_u32_e32 v4, vcc, v4, v17
	v_mul_hi_u32 v15, v9, v14
	s_nop 0
	v_addc_co_u32_e32 v4, vcc, v5, v16, vcc
	v_mul_lo_u32 v12, v9, v14
	s_nop 0
	v_addc_co_u32_e32 v13, vcc, 0, v15, vcc
	v_mov_b32_e32 v5, v8
	v_lshl_add_u64 v[4:5], v[4:5], 0, v[12:13]
	v_add_co_u32_e32 v1, vcc, v1, v4
	v_mul_hi_u32 v12, v10, v1
	s_nop 0
	v_addc_co_u32_e32 v9, vcc, v9, v5, vcc
	v_mad_u64_u32 v[4:5], s[2:3], v10, v9, 0
	v_mov_b32_e32 v13, v8
	v_lshl_add_u64 v[4:5], v[12:13], 0, v[4:5]
	v_mad_u64_u32 v[14:15], s[2:3], v11, v1, 0
	v_add_co_u32_e32 v1, vcc, v4, v14
	v_mad_u64_u32 v[12:13], s[2:3], v11, v9, 0
	s_nop 0
	v_addc_co_u32_e32 v4, vcc, v5, v15, vcc
	v_mov_b32_e32 v5, v8
	s_nop 0
	v_addc_co_u32_e32 v13, vcc, 0, v13, vcc
	v_lshl_add_u64 v[4:5], v[4:5], 0, v[12:13]
	v_mul_lo_u32 v1, s29, v4
	v_mul_lo_u32 v9, s28, v5
	v_mad_u64_u32 v[12:13], s[2:3], s28, v4, 0
	v_add3_u32 v1, v13, v9, v1
	v_sub_u32_e32 v9, v11, v1
	v_mov_b32_e32 v13, s29
	v_sub_co_u32_e32 v16, vcc, v10, v12
	v_lshl_add_u64 v[14:15], v[4:5], 0, 1
	s_nop 0
	v_subb_co_u32_e64 v9, s[2:3], v9, v13, vcc
	v_subrev_co_u32_e64 v12, s[2:3], s28, v16
	v_subb_co_u32_e32 v1, vcc, v11, v1, vcc
	s_nop 0
	v_subbrev_co_u32_e64 v9, s[2:3], 0, v9, s[2:3]
	v_cmp_le_u32_e64 s[2:3], s29, v9
	v_cmp_le_u32_e32 vcc, s29, v1
	s_nop 0
	v_cndmask_b32_e64 v13, 0, -1, s[2:3]
	v_cmp_le_u32_e64 s[2:3], s28, v12
	s_nop 1
	v_cndmask_b32_e64 v12, 0, -1, s[2:3]
	v_cmp_eq_u32_e64 s[2:3], s29, v9
	s_nop 1
	v_cndmask_b32_e64 v9, v13, v12, s[2:3]
	v_lshl_add_u64 v[12:13], v[4:5], 0, 2
	v_cmp_ne_u32_e64 s[2:3], 0, v9
	s_nop 1
	v_cndmask_b32_e64 v9, v15, v13, s[2:3]
	v_cndmask_b32_e64 v13, 0, -1, vcc
	v_cmp_le_u32_e32 vcc, s28, v16
	s_nop 1
	v_cndmask_b32_e64 v15, 0, -1, vcc
	v_cmp_eq_u32_e32 vcc, s29, v1
	s_nop 1
	v_cndmask_b32_e32 v1, v13, v15, vcc
	v_cmp_ne_u32_e32 vcc, 0, v1
	v_cndmask_b32_e64 v1, v14, v12, s[2:3]
	s_nop 0
	v_cndmask_b32_e32 v5, v5, v9, vcc
	v_cndmask_b32_e32 v4, v4, v1, vcc
.LBB0_4:                                ;   in Loop: Header=BB0_2 Depth=1
	s_andn2_saveexec_b64 s[2:3], s[30:31]
	s_cbranch_execz .LBB0_6
; %bb.5:                                ;   in Loop: Header=BB0_2 Depth=1
	v_cvt_f32_u32_e32 v1, s28
	s_sub_i32 s30, 0, s28
	v_rcp_iflag_f32_e32 v1, v1
	s_nop 0
	v_mul_f32_e32 v1, 0x4f7ffffe, v1
	v_cvt_u32_f32_e32 v1, v1
	v_mul_lo_u32 v4, s30, v1
	v_mul_hi_u32 v4, v1, v4
	v_add_u32_e32 v1, v1, v4
	v_mul_hi_u32 v1, v10, v1
	v_mul_lo_u32 v4, v1, s28
	v_sub_u32_e32 v4, v10, v4
	v_add_u32_e32 v5, 1, v1
	v_subrev_u32_e32 v9, s28, v4
	v_cmp_le_u32_e32 vcc, s28, v4
	s_nop 1
	v_cndmask_b32_e32 v4, v4, v9, vcc
	v_cndmask_b32_e32 v1, v1, v5, vcc
	v_add_u32_e32 v5, 1, v1
	v_cmp_le_u32_e32 vcc, s28, v4
	s_nop 1
	v_cndmask_b32_e32 v4, v1, v5, vcc
	v_mov_b32_e32 v5, v8
.LBB0_6:                                ;   in Loop: Header=BB0_2 Depth=1
	s_or_b64 exec, exec, s[2:3]
	v_mad_u64_u32 v[12:13], s[2:3], v4, s28, 0
	s_load_dwordx2 s[2:3], s[22:23], 0x0
	v_mul_lo_u32 v1, v5, s28
	v_mul_lo_u32 v9, v4, s29
	s_load_dwordx2 s[28:29], s[20:21], 0x0
	s_add_u32 s26, s26, 1
	v_add3_u32 v1, v13, v9, v1
	v_sub_co_u32_e32 v9, vcc, v10, v12
	s_addc_u32 s27, s27, 0
	s_nop 0
	v_subb_co_u32_e32 v1, vcc, v11, v1, vcc
	s_add_u32 s20, s20, 8
	s_waitcnt lgkmcnt(0)
	v_mul_lo_u32 v10, s2, v1
	v_mul_lo_u32 v11, s3, v9
	v_mad_u64_u32 v[6:7], s[2:3], s2, v9, v[6:7]
	s_addc_u32 s21, s21, 0
	v_add3_u32 v7, v11, v7, v10
	v_mul_lo_u32 v1, s28, v1
	v_mul_lo_u32 v10, s29, v9
	v_mad_u64_u32 v[2:3], s[2:3], s28, v9, v[2:3]
	s_add_u32 s22, s22, 8
	v_add3_u32 v3, v10, v3, v1
	s_addc_u32 s23, s23, 0
	v_mov_b64_e32 v[10:11], s[6:7]
	s_add_u32 s24, s24, 8
	v_cmp_ge_u64_e32 vcc, s[26:27], v[10:11]
	s_addc_u32 s25, s25, 0
	s_cbranch_vccnz .LBB0_9
; %bb.7:                                ;   in Loop: Header=BB0_2 Depth=1
	v_mov_b64_e32 v[10:11], v[4:5]
	s_branch .LBB0_2
.LBB0_8:
	v_mov_b64_e32 v[2:3], v[6:7]
	v_mov_b64_e32 v[4:5], v[10:11]
.LBB0_9:
	s_load_dwordx2 s[0:1], s[0:1], 0x28
	s_lshl_b64 s[6:7], s[6:7], 3
	s_add_u32 s2, s14, s6
	s_addc_u32 s3, s15, s7
	v_and_b32_e32 v42, 3, v0
	s_waitcnt lgkmcnt(0)
	v_cmp_gt_u64_e32 vcc, s[0:1], v[4:5]
	v_cmp_le_u64_e64 s[0:1], s[0:1], v[4:5]
                                        ; implicit-def: $sgpr14_sgpr15
                                        ; implicit-def: $vgpr44
                                        ; implicit-def: $vgpr43
	s_and_saveexec_b64 s[20:21], s[0:1]
	s_xor_b64 s[0:1], exec, s[20:21]
; %bb.10:
	v_and_b32_e32 v42, 3, v0
	v_or_b32_e32 v44, 4, v42
	v_or_b32_e32 v43, 8, v42
	s_mov_b64 s[14:15], 0
                                        ; implicit-def: $vgpr6_vgpr7
; %bb.11:
	s_or_saveexec_b64 s[0:1], s[0:1]
	v_mov_b64_e32 v[0:1], s[14:15]
                                        ; implicit-def: $vgpr18
                                        ; implicit-def: $vgpr9
                                        ; implicit-def: $vgpr36
                                        ; implicit-def: $vgpr28
                                        ; implicit-def: $vgpr30
                                        ; implicit-def: $vgpr12
                                        ; implicit-def: $vgpr14
                                        ; implicit-def: $vgpr16
                                        ; implicit-def: $vgpr40
                                        ; implicit-def: $vgpr32
                                        ; implicit-def: $vgpr22
	s_xor_b64 exec, exec, s[0:1]
	s_cbranch_execz .LBB0_13
; %bb.12:
	s_add_u32 s6, s12, s6
	s_addc_u32 s7, s13, s7
	s_load_dwordx2 s[6:7], s[6:7], 0x0
	v_or_b32_e32 v44, 4, v42
	v_or_b32_e32 v43, 8, v42
	;; [unrolled: 1-line block ×3, first 2 shown]
	s_waitcnt lgkmcnt(0)
	v_mul_lo_u32 v8, s7, v4
	v_mul_lo_u32 v9, s6, v5
	v_mad_u64_u32 v[0:1], s[6:7], s6, v4, 0
	v_add3_u32 v1, v1, v9, v8
	v_mad_u64_u32 v[8:9], s[6:7], s18, v42, 0
	v_mov_b32_e32 v10, v9
	v_mad_u64_u32 v[10:11], s[6:7], s19, v42, v[10:11]
	v_lshl_add_u64 v[0:1], v[0:1], 3, s[8:9]
	v_mov_b32_e32 v9, v10
	v_lshl_add_u64 v[6:7], v[6:7], 3, v[0:1]
	v_mad_u64_u32 v[0:1], s[6:7], s18, v44, 0
	v_lshl_add_u64 v[10:11], v[8:9], 3, v[6:7]
	v_mov_b32_e32 v8, v1
	v_mad_u64_u32 v[8:9], s[6:7], s19, v44, v[8:9]
	v_mov_b32_e32 v1, v8
	v_lshl_add_u64 v[12:13], v[0:1], 3, v[6:7]
	v_mad_u64_u32 v[0:1], s[6:7], s18, v43, 0
	v_mov_b32_e32 v8, v1
	v_mad_u64_u32 v[8:9], s[6:7], s19, v43, v[8:9]
	v_mov_b32_e32 v1, v8
	v_or_b32_e32 v9, 12, v42
	v_lshl_add_u64 v[14:15], v[0:1], 3, v[6:7]
	v_mad_u64_u32 v[0:1], s[6:7], s18, v9, 0
	v_mov_b32_e32 v8, v1
	v_mad_u64_u32 v[8:9], s[6:7], s19, v9, v[8:9]
	v_mov_b32_e32 v1, v8
	v_lshl_add_u64 v[22:23], v[0:1], 3, v[6:7]
	global_load_dwordx2 v[0:1], v[10:11], off
	global_load_dwordx2 v[18:19], v[12:13], off
	;; [unrolled: 1-line block ×4, first 2 shown]
	v_or_b32_e32 v13, 16, v42
	v_mad_u64_u32 v[10:11], s[6:7], s18, v13, 0
	v_mov_b32_e32 v12, v11
	v_mad_u64_u32 v[12:13], s[6:7], s19, v13, v[12:13]
	v_or_b32_e32 v15, 20, v42
	v_mov_b32_e32 v11, v12
	v_mad_u64_u32 v[12:13], s[6:7], s18, v15, 0
	v_mov_b32_e32 v14, v13
	v_mad_u64_u32 v[14:15], s[6:7], s19, v15, v[14:15]
	v_mov_b32_e32 v13, v14
	v_or_b32_e32 v15, 24, v42
	v_lshl_add_u64 v[22:23], v[12:13], 3, v[6:7]
	v_mad_u64_u32 v[12:13], s[6:7], s18, v15, 0
	v_mov_b32_e32 v14, v13
	v_mad_u64_u32 v[14:15], s[6:7], s19, v15, v[14:15]
	v_mov_b32_e32 v13, v14
	v_or_b32_e32 v15, 28, v42
	v_lshl_add_u64 v[24:25], v[12:13], 3, v[6:7]
	v_mad_u64_u32 v[12:13], s[6:7], s18, v15, 0
	v_mov_b32_e32 v14, v13
	v_mad_u64_u32 v[14:15], s[6:7], s19, v15, v[14:15]
	v_lshl_add_u64 v[10:11], v[10:11], 3, v[6:7]
	v_mov_b32_e32 v13, v14
	v_lshl_add_u64 v[26:27], v[12:13], 3, v[6:7]
	global_load_dwordx2 v[12:13], v[10:11], off
	global_load_dwordx2 v[34:35], v[22:23], off
	;; [unrolled: 1-line block ×4, first 2 shown]
	v_mad_u64_u32 v[10:11], s[6:7], s18, v21, 0
	v_mov_b32_e32 v22, v11
	v_mad_u64_u32 v[22:23], s[6:7], s19, v21, v[22:23]
	v_or_b32_e32 v21, 36, v42
	v_mov_b32_e32 v11, v22
	v_mad_u64_u32 v[22:23], s[6:7], s18, v21, 0
	v_mov_b32_e32 v24, v23
	v_mad_u64_u32 v[24:25], s[6:7], s19, v21, v[24:25]
	v_or_b32_e32 v21, 40, v42
	v_mov_b32_e32 v23, v24
	v_mad_u64_u32 v[24:25], s[6:7], s18, v21, 0
	v_mov_b32_e32 v26, v25
	v_mad_u64_u32 v[26:27], s[6:7], s19, v21, v[26:27]
	v_lshl_add_u64 v[10:11], v[10:11], 3, v[6:7]
	v_mov_b32_e32 v25, v26
	v_lshl_add_u64 v[22:23], v[22:23], 3, v[6:7]
	global_load_dwordx2 v[26:27], v[10:11], off
	global_load_dwordx2 v[32:33], v[22:23], off
	v_lshl_add_u64 v[6:7], v[24:25], 3, v[6:7]
	global_load_dwordx2 v[22:23], v[6:7], off
	s_waitcnt vmcnt(9)
	v_mov_b32_e32 v37, v19
	s_waitcnt vmcnt(7)
	v_mov_b32_e32 v36, v17
	v_mov_b32_e32 v17, v8
	s_waitcnt vmcnt(6)
	v_mov_b32_e32 v29, v12
	s_waitcnt vmcnt(5)
	;; [unrolled: 2-line block ×4, first 2 shown]
	v_mov_b32_e32 v31, v14
	v_mov_b32_e32 v12, v35
	;; [unrolled: 1-line block ×3, first 2 shown]
	s_waitcnt vmcnt(2)
	v_mov_b32_e32 v40, v26
	s_waitcnt vmcnt(1)
	v_mov_b32_e32 v41, v32
	v_mov_b32_e32 v32, v27
.LBB0_13:
	s_or_b64 exec, exec, s[0:1]
	v_mov_b32_e32 v19, v37
	s_waitcnt vmcnt(0)
	v_pk_add_f32 v[6:7], v[18:19], v[22:23]
	v_pk_add_f32 v[10:11], v[36:37], v[22:23] neg_lo:[0,1] neg_hi:[0,1]
	s_mov_b32 s8, 0xbf0a6770
	v_mov_b32_e32 v7, v11
	s_mov_b32 s6, 0x3f575c64
	s_mov_b32 s7, s8
	v_pk_mul_f32 v[10:11], v[6:7], s[6:7]
	s_mov_b32 s21, 0xbf7d64f0
	s_mov_b32 s20, 0xbe11bafb
	v_sub_f32_e32 v8, v10, v11
	v_pk_mul_f32 v[24:25], v[6:7], s[20:21]
	v_add_f32_e32 v19, v8, v0
	s_mov_b32 s18, 0x3ed4b147
	v_add_f32_e32 v8, v25, v24
	s_mov_b32 s19, 0xbf68dda4
	v_add_f32_e32 v21, v8, v0
	v_mov_b32_e32 v8, v36
	v_pk_add_f32 v[34:35], v[8:9], v[32:33] neg_lo:[0,1] neg_hi:[0,1]
	s_mov_b32 s0, s21
	s_mov_b32 s1, s19
	v_pk_add_f32 v[26:27], v[16:17], v[40:41]
	s_mov_b32 s26, s20
	s_mov_b32 s27, s18
	v_pk_mul_f32 v[38:39], v[34:35], s[0:1]
	s_mov_b32 s14, 0xbe903f40
	s_mov_b32 s22, 0x3e903f40
	v_pk_fma_f32 v[46:47], v[26:27], s[26:27], v[38:39] neg_lo:[0,0,1] neg_hi:[0,0,1]
	s_mov_b32 s15, 0x3f68dda4
	s_mov_b32 s12, 0xbf75a155
	v_add_f32_e32 v8, v47, v19
	s_mov_b32 s24, s15
	s_mov_b32 s25, s22
	v_add_f32_e32 v45, v46, v8
	s_mov_b32 s0, s18
	s_mov_b32 s1, s12
	v_pk_mul_f32 v[46:47], v[34:35], s[24:25]
	v_pk_add_f32 v[50:51], v[12:13], v[14:15] neg_lo:[0,1] neg_hi:[0,1]
	v_pk_fma_f32 v[48:49], v[26:27], s[0:1], v[46:47]
	v_mov_b32_e32 v52, v51
	v_add_f32_e32 v8, v49, v21
	v_add_f32_e32 v64, v48, v8
	v_pk_add_f32 v[48:49], v[28:29], v[30:31]
	s_mov_b32 s9, s6
	v_mov_b32_e32 v53, v49
	v_pk_mul_f32 v[54:55], v[52:53], s[8:9]
	s_mov_b32 s24, 0xbf27a4f4
	v_mov_b32_e32 v19, v54
	v_mov_b32_e32 v8, v55
	s_mov_b32 s25, 0xbf4178ce
	v_mov_b32_e32 v54, v48
	v_mov_b32_e32 v55, v50
	v_pk_mul_f32 v[58:59], v[54:55], s[24:25]
	v_pk_fma_f32 v[56:57], v[52:53], s[8:9], v[18:19]
	v_pk_fma_f32 v[52:53], v[52:53], s[8:9], v[8:9] neg_lo:[1,0,0] neg_hi:[1,0,0]
	v_mov_b32_e32 v8, v59
	v_pk_fma_f32 v[54:55], v[54:55], s[24:25], v[8:9] neg_lo:[0,0,1] neg_hi:[0,0,1]
	v_add_f32_e32 v8, v18, v0
	v_add_f32_e32 v8, v17, v8
	;; [unrolled: 1-line block ×4, first 2 shown]
	v_mov_b32_e32 v61, v10
	v_mov_b32_e32 v10, v28
	v_pk_add_f32 v[10:11], v[10:11], v[60:61]
	v_mov_b32_e32 v60, v30
	v_mov_b32_e32 v61, v0
	v_pk_fma_f32 v[38:39], v[26:27], s[26:27], v[38:39]
	v_pk_add_f32 v[10:11], v[60:61], v[10:11]
	v_mov_b32_e32 v60, v31
	v_mov_b32_e32 v61, v39
	v_pk_add_f32 v[10:11], v[60:61], v[10:11]
	v_mov_b32_e32 v39, v38
	v_mov_b32_e32 v38, v40
	s_mov_b32 s26, s14
	s_mov_b32 s27, s25
	v_pk_add_f32 v[10:11], v[38:39], v[10:11]
	s_mov_b32 s13, s24
	v_pk_mul_f32 v[38:39], v[50:51], s[26:27]
	v_mov_b32_e32 v62, v41
	v_pk_fma_f32 v[60:61], v[48:49], s[12:13], v[38:39]
	v_mul_u32_u24_e32 v68, 44, v20
	v_mov_b32_e32 v63, v61
	s_mov_b32 s28, 0x3f7d64f0
	v_pk_add_f32 v[10:11], v[62:63], v[10:11]
	v_mov_b32_e32 v61, v60
	v_mov_b32_e32 v60, v22
	v_lshl_add_u32 v69, v68, 2, 0
	s_mov_b32 s29, 0x3f0a6770
	v_pk_add_f32 v[10:11], v[60:61], v[10:11]
	v_mad_u32_u24 v19, v42, 44, v69
	s_mov_b32 s26, s29
	s_mov_b32 s27, s28
	ds_write2_b32 v19, v10, v11 offset1:1
	s_mov_b32 s7, s20
	v_pk_mul_f32 v[10:11], v[50:51], s[26:27]
	s_mov_b32 s23, s25
	v_pk_fma_f32 v[20:21], v[48:49], s[6:7], v[10:11]
	v_pk_fma_f32 v[60:61], v[48:49], s[6:7], v[10:11] neg_lo:[0,0,1] neg_hi:[0,0,1]
	v_mov_b32_e32 v11, v57
	v_pk_mul_f32 v[56:57], v[48:49], s[6:7]
	v_pk_mul_f32 v[62:63], v[26:27], s[12:13]
	v_mov_b32_e32 v57, v64
	v_pk_add_f32 v[10:11], v[10:11], v[56:57]
	v_pk_mul_f32 v[56:57], v[6:7], s[18:19]
	v_pk_fma_f32 v[64:65], v[34:35], s[22:23], v[62:63]
	v_add_f32_e32 v8, v57, v56
	v_add_f32_e32 v8, v8, v0
	;; [unrolled: 1-line block ×4, first 2 shown]
	v_mov_b32_e32 v64, v21
	v_mov_b32_e32 v65, v59
	;; [unrolled: 1-line block ×3, first 2 shown]
	v_pk_add_f32 v[20:21], v[64:65], v[20:21]
	s_mov_b32 s26, s24
	v_pk_add_f32 v[10:11], v[20:21], v[10:11]
	ds_write2_b32 v19, v10, v11 offset0:2 offset1:3
	v_pk_fma_f32 v[10:11], v[48:49], s[12:13], v[38:39] neg_lo:[0,0,1] neg_hi:[0,0,1]
	s_mov_b32 s13, s25
	s_mov_b32 s27, s14
	v_pk_mul_f32 v[20:21], v[6:7], s[12:13]
	s_mov_b32 s30, s20
	v_pk_fma_f32 v[38:39], v[6:7], s[26:27], v[20:21] op_sel:[0,0,1] op_sel_hi:[1,1,0]
	s_mov_b32 s31, s6
	v_pk_mul_f32 v[58:59], v[34:35], s[28:29] op_sel:[1,0]
	s_mov_b32 s9, s25
	v_pk_add_f32 v[38:39], v[38:39], v[0:1] op_sel_hi:[1,0]
	v_pk_fma_f32 v[64:65], v[26:27], s[30:31], v[58:59] op_sel:[1,0,0]
	v_pk_fma_f32 v[62:63], v[34:35], s[22:23], v[62:63] neg_lo:[1,0,0] neg_hi:[1,0,0]
	s_mov_b32 s7, s24
	v_pk_mul_f32 v[34:35], v[34:35], s[8:9] op_sel_hi:[0,1]
	v_pk_add_f32 v[38:39], v[64:65], v[38:39]
	v_pk_fma_f32 v[64:65], v[26:27], s[6:7], v[34:35] op_sel_hi:[0,1,1]
	v_pk_add_f32 v[38:39], v[64:65], v[38:39]
	s_mov_b32 s13, s18
	v_pk_mul_f32 v[64:65], v[50:51], s[14:15] op_sel:[1,0]
	s_mov_b32 s36, s15
	s_mov_b32 s37, s21
	v_pk_fma_f32 v[66:67], v[48:49], s[12:13], v[64:65] op_sel:[1,0,0]
	s_mov_b32 s34, s18
	s_mov_b32 s35, s20
	v_pk_mul_f32 v[50:51], v[50:51], s[36:37] op_sel_hi:[0,1]
	v_pk_add_f32 v[38:39], v[66:67], v[38:39]
	v_pk_fma_f32 v[66:67], v[48:49], s[34:35], v[50:51] op_sel_hi:[0,1,1]
	v_pk_add_f32 v[38:39], v[66:67], v[38:39]
	v_pk_mul_f32 v[6:7], v[6:7], s[26:27]
	ds_write2_b32 v19, v38, v39 offset0:4 offset1:5
	v_mov_b32_e32 v38, v6
	v_mov_b32_e32 v39, v20
	;; [unrolled: 1-line block ×3, first 2 shown]
	v_pk_add_f32 v[6:7], v[38:39], v[6:7] neg_lo:[0,1] neg_hi:[0,1]
	v_pk_fma_f32 v[20:21], v[26:27], s[30:31], v[58:59] op_sel:[1,0,0] neg_lo:[0,0,1] neg_hi:[0,0,1]
	v_pk_add_f32 v[6:7], v[6:7], v[0:1] op_sel_hi:[1,0]
	v_mov_b32_e32 v53, v61
	v_pk_add_f32 v[6:7], v[20:21], v[6:7]
	v_pk_fma_f32 v[20:21], v[26:27], s[0:1], v[46:47] neg_lo:[0,0,1] neg_hi:[0,0,1]
	v_pk_fma_f32 v[26:27], v[26:27], s[6:7], v[34:35] op_sel_hi:[0,1,1] neg_lo:[0,0,1] neg_hi:[0,0,1]
	v_pk_add_f32 v[6:7], v[26:27], v[6:7]
	v_pk_fma_f32 v[26:27], v[48:49], s[12:13], v[64:65] op_sel:[1,0,0] neg_lo:[0,0,1] neg_hi:[0,0,1]
	v_mov_b32_e32 v55, v60
	v_pk_add_f32 v[6:7], v[26:27], v[6:7]
	v_pk_fma_f32 v[26:27], v[48:49], s[34:35], v[50:51] op_sel_hi:[0,1,1] neg_lo:[0,0,1] neg_hi:[0,0,1]
	v_pk_add_f32 v[6:7], v[26:27], v[6:7]
	ds_write2_b32 v19, v7, v6 offset0:6 offset1:7
	v_mov_b32_e32 v6, v24
	v_mov_b32_e32 v7, v56
	;; [unrolled: 1-line block ×3, first 2 shown]
	v_pk_add_f32 v[6:7], v[6:7], v[56:57] neg_lo:[0,1] neg_hi:[0,1]
	v_mov_b32_e32 v24, v21
	v_pk_add_f32 v[6:7], v[6:7], v[0:1] op_sel_hi:[1,0]
	v_mov_b32_e32 v25, v63
	v_pk_add_f32 v[6:7], v[24:25], v[6:7]
	v_mov_b32_e32 v21, v62
	v_pk_add_f32 v[6:7], v[20:21], v[6:7]
	s_movk_i32 s0, 0xffd8
	v_pk_add_f32 v[6:7], v[52:53], v[6:7]
	v_add_f32_e32 v8, v11, v45
	v_pk_add_f32 v[6:7], v[54:55], v[6:7]
	v_mad_i32_i24 v45, v42, s0, v19
	v_add_f32_e32 v11, v10, v8
	s_load_dwordx2 s[26:27], s[2:3], 0x0
	ds_write2_b32 v19, v6, v7 offset0:8 offset1:9
	ds_write_b32 v19, v11 offset:40
	s_waitcnt lgkmcnt(0)
	; wave barrier
	s_waitcnt lgkmcnt(0)
	v_lshl_add_u32 v21, v42, 2, v69
	ds_read2_b32 v[24:25], v45 offset0:11 offset1:15
	ds_read2_b32 v[26:27], v45 offset0:22 offset1:26
	;; [unrolled: 1-line block ×3, first 2 shown]
	v_lshl_add_u32 v48, v44, 2, v69
	ds_read_b32 v38, v21
	ds_read_b32 v20, v48
	v_cmp_eq_u32_e64 s[0:1], 3, v42
	v_cmp_ne_u32_e64 s[2:3], 3, v42
	v_lshlrev_b32_e32 v46, 2, v43
	v_lshlrev_b32_e32 v47, 2, v68
                                        ; implicit-def: $vgpr8
	s_and_saveexec_b64 s[38:39], s[2:3]
	s_cbranch_execz .LBB0_15
; %bb.14:
	v_add3_u32 v6, 0, v46, v47
	ds_read2_b32 v[10:11], v45 offset0:19 offset1:30
	ds_read_b32 v6, v6
	ds_read_b32 v8, v45 offset:164
	s_waitcnt lgkmcnt(2)
	v_mov_b32_e32 v7, v10
.LBB0_15:
	s_or_b64 exec, exec, s[38:39]
	v_mov_b32_e32 v54, v33
	v_mov_b32_e32 v55, v17
	;; [unrolled: 1-line block ×4, first 2 shown]
	v_pk_add_f32 v[58:59], v[54:55], v[56:57]
	v_pk_add_f32 v[54:55], v[54:55], v[56:57] neg_lo:[0,1] neg_hi:[0,1]
	v_mov_b32_e32 v56, v58
	v_mov_b32_e32 v57, v55
	v_add_f32_e32 v10, v37, v1
	v_pk_mul_f32 v[60:61], v[56:57], s[18:19]
	v_add_f32_e32 v50, v9, v10
	v_sub_f32_e32 v10, v18, v22
	v_mov_b32_e32 v9, v60
	v_add_f32_e32 v18, v60, v61
	v_mov_b32_e32 v60, v36
	v_mov_b32_e32 v61, v16
	;; [unrolled: 1-line block ×4, first 2 shown]
	v_pk_add_f32 v[40:41], v[60:61], v[16:17]
	v_pk_add_f32 v[16:17], v[60:61], v[16:17] neg_lo:[0,1] neg_hi:[0,1]
	v_mov_b32_e32 v60, v40
	v_mov_b32_e32 v61, v17
	v_pk_mul_f32 v[62:63], v[60:61], s[20:21]
	s_waitcnt lgkmcnt(0)
	v_pk_fma_f32 v[56:57], v[56:57], s[18:19], v[8:9] neg_lo:[1,0,0] neg_hi:[1,0,0]
	v_mov_b32_e32 v9, v62
	v_add_f32_e32 v22, v62, v63
	v_mov_b32_e32 v62, v13
	v_mov_b32_e32 v63, v29
	;; [unrolled: 1-line block ×4, first 2 shown]
	v_pk_add_f32 v[66:67], v[62:63], v[64:65]
	v_pk_add_f32 v[62:63], v[62:63], v[64:65] neg_lo:[0,1] neg_hi:[0,1]
	v_mov_b32_e32 v51, v23
	v_mov_b32_e32 v64, v66
	;; [unrolled: 1-line block ×3, first 2 shown]
	v_pk_add_f32 v[36:37], v[36:37], v[50:51]
	v_mov_b32_e32 v51, 0x3f575c64
	v_mov_b32_e32 v50, v13
	v_pk_mul_f32 v[68:69], v[64:65], s[24:25]
	v_pk_mul_f32 v[72:73], v[50:51], v[36:37]
	v_pk_fma_f32 v[60:61], v[60:61], s[20:21], v[8:9] neg_lo:[1,0,0] neg_hi:[1,0,0]
	v_mov_b32_e32 v9, v68
	v_fmac_f32_e32 v73, 0xbf0a6770, v10
	v_pk_fma_f32 v[64:65], v[64:65], s[24:25], v[8:9] neg_lo:[1,0,0] neg_hi:[1,0,0]
	v_add_f32_e32 v9, v73, v1
	v_pk_add_f32 v[70:71], v[50:51], v[36:37]
	v_add_f32_e32 v9, v18, v9
	v_pk_add_f32 v[70:71], v[70:71], v[12:13]
	v_add_f32_e32 v9, v22, v9
	v_add_f32_e32 v13, v68, v69
	v_mul_f32_e32 v53, 0xbf0a6770, v10
	v_mov_b32_e32 v52, v12
	v_mov_b32_e32 v56, v15
	v_add_f32_e32 v18, v13, v9
	v_mov_b32_e32 v13, v28
	v_mov_b32_e32 v15, v30
	v_pk_fma_f32 v[50:51], v[50:51], v[36:37], v[52:53] neg_lo:[0,0,1] neg_hi:[0,0,1]
	v_pk_add_f32 v[28:29], v[12:13], v[14:15]
	v_pk_add_f32 v[30:31], v[12:13], v[14:15] neg_lo:[0,1] neg_hi:[0,1]
	v_mov_b32_e32 v71, v51
	v_mov_b32_e32 v50, v14
	;; [unrolled: 1-line block ×5, first 2 shown]
	s_mov_b32 s38, s12
	s_mov_b32 s39, s14
	v_pk_add_f32 v[50:51], v[50:51], v[70:71]
	v_pk_mul_f32 v[14:15], v[12:13], s[38:39]
	v_pk_add_f32 v[50:51], v[56:57], v[50:51]
	v_mov_b32_e32 v60, v32
	v_mov_b32_e32 v9, v14
	v_pk_add_f32 v[50:51], v[60:61], v[50:51]
	v_mov_b32_e32 v64, v33
	v_pk_fma_f32 v[12:13], v[12:13], s[38:39], v[8:9] neg_lo:[1,0,0] neg_hi:[1,0,0]
	v_pk_add_f32 v[32:33], v[64:65], v[50:51]
	v_mov_b32_e32 v12, v23
	s_mov_b32 s20, s19
	v_pk_add_f32 v[22:23], v[12:13], v[32:33]
	v_pk_mul_f32 v[12:13], v[10:11], s[20:21] op_sel_hi:[0,1]
	s_mov_b32 s20, s25
	s_mov_b32 s21, s22
	;; [unrolled: 1-line block ×4, first 2 shown]
	v_pk_mul_f32 v[32:33], v[54:55], s[20:21] op_sel:[1,0]
	s_mov_b32 s23, s15
	v_pk_fma_f32 v[60:61], v[36:37], s[34:35], v[12:13] op_sel:[1,0,0] neg_lo:[0,0,1] neg_hi:[0,0,1]
	v_pk_fma_f32 v[50:51], v[58:59], s[18:19], v[32:33] op_sel_hi:[0,1,1] neg_lo:[0,0,1] neg_hi:[0,0,1]
	v_pk_mul_f32 v[52:53], v[16:17], s[22:23] op_sel:[1,0]
	v_pk_add_f32 v[60:61], v[60:61], v[0:1] op_sel:[0,1]
	v_pk_fma_f32 v[56:57], v[40:41], s[12:13], v[52:53] op_sel_hi:[0,1,1] neg_lo:[0,0,1] neg_hi:[0,0,1]
	v_pk_add_f32 v[50:51], v[50:51], v[60:61]
	s_mov_b32 s20, s28
	s_mov_b32 s21, s8
	v_pk_fma_f32 v[12:13], v[36:37], s[34:35], v[12:13] op_sel:[1,0,0]
	v_pk_add_f32 v[50:51], v[56:57], v[50:51]
	v_pk_mul_f32 v[56:57], v[62:63], s[20:21] op_sel:[1,0]
	v_pk_fma_f32 v[32:33], v[58:59], s[18:19], v[32:33] op_sel_hi:[0,1,1]
	v_pk_add_f32 v[12:13], v[12:13], v[0:1] op_sel:[0,1]
	v_pk_fma_f32 v[60:61], v[66:67], s[30:31], v[56:57] op_sel_hi:[0,1,1] neg_lo:[0,0,1] neg_hi:[0,0,1]
	s_mov_b32 s24, s29
	v_pk_fma_f32 v[52:53], v[40:41], s[12:13], v[52:53] op_sel_hi:[0,1,1]
	v_pk_add_f32 v[12:13], v[32:33], v[12:13]
	v_pk_add_f32 v[50:51], v[60:61], v[50:51]
	v_pk_mul_f32 v[60:61], v[30:31], s[24:25] op_sel:[1,0]
	v_pk_add_f32 v[12:13], v[52:53], v[12:13]
	v_pk_fma_f32 v[32:33], v[66:67], s[30:31], v[56:57] op_sel_hi:[0,1,1]
	v_pk_add_f32 v[12:13], v[32:33], v[12:13]
	v_pk_fma_f32 v[32:33], v[28:29], s[6:7], v[60:61] op_sel_hi:[0,1,1]
	s_mov_b32 s20, s25
	s_mov_b32 s21, s14
	v_pk_add_f32 v[12:13], v[32:33], v[12:13]
	v_pk_mul_f32 v[32:33], v[10:11], s[20:21] op_sel_hi:[0,1]
	v_pk_fma_f32 v[64:65], v[28:29], s[6:7], v[60:61] op_sel_hi:[0,1,1] neg_lo:[0,0,1] neg_hi:[0,0,1]
	v_pk_mul_f32 v[52:53], v[54:55], s[28:29] op_sel:[1,0]
	v_pk_fma_f32 v[60:61], v[36:37], s[18:19], v[32:33] op_sel:[1,0,0] neg_lo:[0,0,1] neg_hi:[0,0,1]
	v_pk_fma_f32 v[54:55], v[58:59], s[30:31], v[52:53] op_sel_hi:[0,1,1] neg_lo:[0,0,1] neg_hi:[0,0,1]
	v_pk_mul_f32 v[16:17], v[16:17], s[8:9] op_sel:[1,0]
	v_pk_add_f32 v[60:61], v[60:61], v[0:1] op_sel:[0,1]
	v_pk_fma_f32 v[32:33], v[36:37], s[18:19], v[32:33] op_sel:[1,0,0]
	v_pk_fma_f32 v[56:57], v[40:41], s[6:7], v[16:17] op_sel_hi:[0,1,1] neg_lo:[0,0,1] neg_hi:[0,0,1]
	v_pk_add_f32 v[54:55], v[54:55], v[60:61]
	v_pk_fma_f32 v[52:53], v[58:59], s[30:31], v[52:53] op_sel_hi:[0,1,1]
	v_pk_add_f32 v[0:1], v[32:33], v[0:1] op_sel:[0,1]
	v_pk_add_f32 v[54:55], v[56:57], v[54:55]
	v_pk_mul_f32 v[56:57], v[62:63], s[14:15] op_sel:[1,0]
	v_pk_fma_f32 v[16:17], v[40:41], s[6:7], v[16:17] op_sel_hi:[0,1,1]
	v_pk_add_f32 v[0:1], v[52:53], v[0:1]
	v_pk_mul_f32 v[30:31], v[30:31], s[36:37] op_sel:[1,0]
	v_pk_add_f32 v[0:1], v[16:17], v[0:1]
	v_pk_fma_f32 v[16:17], v[66:67], s[12:13], v[56:57] op_sel_hi:[0,1,1]
	v_pk_fma_f32 v[60:61], v[66:67], s[12:13], v[56:57] op_sel_hi:[0,1,1] neg_lo:[0,0,1] neg_hi:[0,0,1]
	v_pk_add_f32 v[0:1], v[16:17], v[0:1]
	v_pk_fma_f32 v[16:17], v[28:29], s[34:35], v[30:31] op_sel_hi:[0,1,1]
	v_add_f32_e32 v9, v14, v15
	v_pk_add_f32 v[54:55], v[60:61], v[54:55]
	v_pk_fma_f32 v[60:61], v[28:29], s[34:35], v[30:31] op_sel_hi:[0,1,1] neg_lo:[0,0,1] neg_hi:[0,0,1]
	v_pk_add_f32 v[0:1], v[16:17], v[0:1]
	v_add_f32_e32 v15, v9, v18
	v_pk_add_f32 v[50:51], v[64:65], v[50:51]
	v_pk_add_f32 v[54:55], v[60:61], v[54:55]
	s_waitcnt lgkmcnt(0)
	; wave barrier
	ds_write2_b32 v19, v22, v23 offset1:1
	ds_write2_b32 v19, v50, v51 offset0:2 offset1:3
	ds_write2_b32 v19, v54, v55 offset0:4 offset1:5
	;; [unrolled: 1-line block ×4, first 2 shown]
	ds_write_b32 v19, v15 offset:40
	s_waitcnt lgkmcnt(0)
	; wave barrier
	s_waitcnt lgkmcnt(0)
	ds_read2_b32 v[16:17], v45 offset0:11 offset1:15
	ds_read2_b32 v[18:19], v45 offset0:22 offset1:26
	;; [unrolled: 1-line block ×3, first 2 shown]
	ds_read_b32 v39, v21
	ds_read_b32 v21, v48
	v_mov_b32_e32 v10, v1
	v_mov_b32_e32 v1, v12
                                        ; implicit-def: $vgpr0
	s_and_saveexec_b64 s[6:7], s[2:3]
	s_cbranch_execz .LBB0_17
; %bb.16:
	v_add3_u32 v0, 0, v46, v47
	ds_read2_b32 v[14:15], v45 offset0:19 offset1:30
	ds_read_b32 v13, v0
	ds_read_b32 v0, v45 offset:164
	s_waitcnt lgkmcnt(2)
	v_mov_b32_e32 v12, v14
.LBB0_17:
	s_or_b64 exec, exec, s[6:7]
	s_and_saveexec_b64 s[2:3], vcc
	s_cbranch_execz .LBB0_20
; %bb.18:
	v_mul_u32_u24_e32 v1, 3, v42
	v_lshlrev_b32_e32 v1, 3, v1
	global_load_dwordx2 v[32:33], v1, s[4:5] offset:16
	global_load_dwordx4 v[28:31], v1, s[4:5]
	v_mul_lo_u32 v1, s27, v4
	v_mul_lo_u32 v9, s26, v5
	v_mad_u64_u32 v[36:37], s[2:3], s26, v4, 0
	v_mul_i32_i24_e32 v4, 3, v44
	v_mov_b32_e32 v5, 0
	v_lshl_add_u64 v[54:55], v[4:5], 3, s[4:5]
	global_load_dwordx4 v[44:47], v[54:55], off
	global_load_dwordx2 v[56:57], v[54:55], off offset:16
	s_mov_b32 s2, 0xba2e8ba3
	v_add3_u32 v37, v37, v9, v1
	v_mul_hi_u32 v1, v42, s2
	v_lshrrev_b32_e32 v1, 3, v1
	v_mul_lo_u32 v1, v1, 11
	s_waitcnt lgkmcnt(3)
	v_mov_b32_e32 v41, v18
	v_add_u32_e32 v18, 4, v42
	v_lshl_add_u64 v[36:37], v[36:37], 3, s[10:11]
	v_sub_u32_e32 v1, v42, v1
	s_waitcnt lgkmcnt(2)
	v_mov_b32_e32 v40, v22
	v_mul_hi_u32 v4, v18, s2
	v_lshl_add_u64 v[2:3], v[2:3], 3, v[36:37]
	v_mad_u64_u32 v[36:37], s[2:3], s16, v1, 0
	v_add_u32_e32 v22, 11, v1
	v_mov_b32_e32 v48, v34
	v_mov_b32_e32 v49, v26
	v_lshrrev_b32_e32 v9, 3, v4
	v_add_u32_e32 v26, 22, v1
	v_add_u32_e32 v34, 33, v1
	v_mov_b32_e32 v4, v37
	v_mad_u64_u32 v[54:55], s[2:3], s16, v22, 0
	v_mad_u64_u32 v[58:59], s[2:3], s16, v26, 0
	;; [unrolled: 1-line block ×4, first 2 shown]
	v_mov_b32_e32 v4, v55
	v_mov_b32_e32 v10, v59
	;; [unrolled: 1-line block ×4, first 2 shown]
	v_mad_u64_u32 v[62:63], s[2:3], s17, v22, v[4:5]
	v_mad_u64_u32 v[64:65], s[2:3], s17, v26, v[10:11]
	v_mad_u64_u32 v[66:67], s[2:3], s17, v34, v[14:15]
	v_mov_b32_e32 v55, v62
	v_mov_b32_e32 v59, v64
	v_mov_b32_e32 v61, v66
	s_waitcnt lgkmcnt(1)
	v_mov_b32_e32 v51, v39
	v_mov_b32_e32 v53, v38
	v_mul_lo_u32 v1, v9, 11
	v_lshl_add_u64 v[36:37], v[36:37], 3, v[2:3]
	v_sub_u32_e32 v4, v18, v1
	v_lshl_add_u64 v[54:55], v[54:55], 3, v[2:3]
	v_lshl_add_u64 v[58:59], v[58:59], 3, v[2:3]
	;; [unrolled: 1-line block ×3, first 2 shown]
	v_mov_b32_e32 v18, v23
	v_mov_b32_e32 v26, v35
	v_add_u32_e32 v10, 8, v42
	v_cmp_gt_u32_e32 vcc, 11, v10
	s_waitcnt vmcnt(3)
	v_mov_b32_e32 v62, v32
	s_waitcnt vmcnt(2)
	v_mov_b32_e32 v63, v30
	v_mov_b32_e32 v30, v33
	v_pk_mul_f32 v[32:33], v[16:17], v[28:29] op_sel_hi:[0,1]
	v_pk_mul_f32 v[64:65], v[48:49], v[30:31]
	v_pk_mul_f32 v[48:49], v[48:49], v[62:63]
	v_pk_fma_f32 v[66:67], v[24:25], v[28:29], v[32:33] op_sel:[0,0,1] op_sel_hi:[1,1,0]
	v_pk_fma_f32 v[28:29], v[24:25], v[28:29], v[32:33] op_sel:[0,0,1] op_sel_hi:[0,1,0] neg_lo:[1,0,0] neg_hi:[1,0,0]
	v_pk_fma_f32 v[32:33], v[40:41], v[62:63], v[64:65] neg_lo:[0,0,1] neg_hi:[0,0,1]
	v_pk_fma_f32 v[30:31], v[40:41], v[30:31], v[48:49]
	v_mov_b32_e32 v50, v29
	v_mov_b32_e32 v52, v66
	;; [unrolled: 1-line block ×3, first 2 shown]
	v_pk_add_f32 v[28:29], v[50:51], v[32:33] neg_lo:[0,1] neg_hi:[0,1]
	v_pk_add_f32 v[30:31], v[52:53], v[30:31] neg_lo:[0,1] neg_hi:[0,1]
	v_mov_b32_e32 v49, v29
	v_pk_add_f32 v[32:33], v[28:29], v[30:31] op_sel:[0,1] op_sel_hi:[1,0]
	v_pk_add_f32 v[40:41], v[28:29], v[30:31] op_sel:[0,1] op_sel_hi:[1,0] neg_lo:[0,1] neg_hi:[0,1]
	v_mov_b32_e32 v48, v31
	v_mov_b32_e32 v31, v28
	v_pk_fma_f32 v[28:29], v[38:39], 2.0, v[48:49] op_sel_hi:[1,0,1] neg_lo:[0,0,1] neg_hi:[0,0,1]
	v_pk_fma_f32 v[30:31], v[66:67], 2.0, v[30:31] op_sel_hi:[1,0,1] neg_lo:[0,0,1] neg_hi:[0,0,1]
	v_mov_b32_e32 v33, v41
	v_pk_add_f32 v[30:31], v[28:29], v[30:31] neg_lo:[0,1] neg_hi:[0,1]
	v_pk_fma_f32 v[38:39], v[48:49], 2.0, v[32:33] op_sel_hi:[1,0,1] neg_lo:[0,0,1] neg_hi:[0,0,1]
	v_pk_fma_f32 v[28:29], v[28:29], 2.0, v[30:31] op_sel_hi:[1,0,1] neg_lo:[0,0,1] neg_hi:[0,0,1]
	global_store_dwordx2 v[36:37], v[28:29], off
	global_store_dwordx2 v[54:55], v[38:39], off
	;; [unrolled: 1-line block ×4, first 2 shown]
	v_mad_u64_u32 v[28:29], s[2:3], v9, 44, v[4:5]
	v_mad_u64_u32 v[30:31], s[2:3], s16, v28, 0
	v_mov_b32_e32 v4, v31
	v_mad_u64_u32 v[32:33], s[2:3], s17, v28, v[4:5]
	v_add_u32_e32 v1, 11, v28
	v_mov_b32_e32 v31, v32
	v_mad_u64_u32 v[32:33], s[2:3], s16, v1, 0
	v_mov_b32_e32 v4, v33
	v_mad_u64_u32 v[36:37], s[2:3], s17, v1, v[4:5]
	v_add_u32_e32 v1, 22, v28
	v_mov_b32_e32 v33, v36
	v_mad_u64_u32 v[36:37], s[2:3], s16, v1, 0
	v_mov_b32_e32 v4, v37
	v_mad_u64_u32 v[38:39], s[2:3], s17, v1, v[4:5]
	v_add_u32_e32 v1, 33, v28
	v_mad_u64_u32 v[28:29], s[2:3], s16, v1, 0
	v_mov_b32_e32 v4, v29
	s_waitcnt vmcnt(5)
	v_mov_b32_e32 v23, v46
	s_waitcnt vmcnt(4)
	v_mov_b32_e32 v46, v57
	v_mov_b32_e32 v37, v38
	v_mad_u64_u32 v[38:39], s[2:3], s17, v1, v[4:5]
	v_mov_b32_e32 v22, v56
	v_pk_mul_f32 v[34:35], v[26:27], v[46:47]
	v_mov_b32_e32 v4, v17
	v_pk_fma_f32 v[34:35], v[18:19], v[22:23], v[34:35] neg_lo:[0,0,1] neg_hi:[0,0,1]
	v_pk_mul_f32 v[22:23], v[26:27], v[22:23]
	v_pk_mul_f32 v[16:17], v[4:5], v[44:45] op_sel_hi:[0,1]
	v_mov_b32_e32 v4, v25
	v_pk_fma_f32 v[18:19], v[18:19], v[46:47], v[22:23]
	v_pk_fma_f32 v[22:23], v[4:5], v[44:45], v[16:17] op_sel:[0,0,1] op_sel_hi:[1,1,0]
	v_pk_fma_f32 v[16:17], v[4:5], v[44:45], v[16:17] op_sel:[0,0,1] op_sel_hi:[0,1,0] neg_lo:[1,0,0] neg_hi:[1,0,0]
	v_mov_b32_e32 v23, v17
	v_mov_b32_e32 v16, v17
	s_waitcnt lgkmcnt(0)
	v_mov_b32_e32 v17, v21
	v_mov_b32_e32 v24, v22
	;; [unrolled: 1-line block ×3, first 2 shown]
	v_pk_add_f32 v[16:17], v[16:17], v[34:35] neg_lo:[0,1] neg_hi:[0,1]
	v_pk_add_f32 v[18:19], v[24:25], v[18:19] neg_lo:[0,1] neg_hi:[0,1]
	v_lshl_add_u64 v[30:31], v[30:31], 3, v[2:3]
	v_pk_add_f32 v[24:25], v[16:17], v[18:19] op_sel:[0,1] op_sel_hi:[1,0]
	v_pk_add_f32 v[26:27], v[16:17], v[18:19] op_sel:[0,1] op_sel_hi:[1,0] neg_lo:[0,1] neg_hi:[0,1]
	v_lshl_add_u64 v[32:33], v[32:33], 3, v[2:3]
	v_mov_b32_e32 v25, v27
	v_mov_b32_e32 v26, v19
	;; [unrolled: 1-line block ×4, first 2 shown]
	v_pk_fma_f32 v[20:21], v[20:21], 2.0, v[26:27] op_sel_hi:[1,0,1] neg_lo:[0,0,1] neg_hi:[0,0,1]
	v_pk_fma_f32 v[16:17], v[22:23], 2.0, v[18:19] op_sel_hi:[1,0,1] neg_lo:[0,0,1] neg_hi:[0,0,1]
	v_mov_b32_e32 v29, v38
	v_pk_add_f32 v[16:17], v[20:21], v[16:17] neg_lo:[0,1] neg_hi:[0,1]
	v_lshl_add_u64 v[36:37], v[36:37], 3, v[2:3]
	v_pk_fma_f32 v[18:19], v[20:21], 2.0, v[16:17] op_sel_hi:[1,0,1] neg_lo:[0,0,1] neg_hi:[0,0,1]
	global_store_dwordx2 v[30:31], v[18:19], off
	v_pk_fma_f32 v[18:19], v[26:27], 2.0, v[24:25] op_sel_hi:[1,0,1] neg_lo:[0,0,1] neg_hi:[0,0,1]
	v_lshl_add_u64 v[28:29], v[28:29], 3, v[2:3]
	global_store_dwordx2 v[32:33], v[18:19], off
	global_store_dwordx2 v[36:37], v[16:17], off
	;; [unrolled: 1-line block ×3, first 2 shown]
	s_and_b64 exec, exec, vcc
	s_cbranch_execz .LBB0_20
; %bb.19:
	v_mul_i32_i24_e32 v1, 3, v43
	v_cndmask_b32_e64 v4, v1, 0, s[0:1]
	v_lshl_add_u64 v[4:5], v[4:5], 3, s[4:5]
	global_load_dwordx4 v[16:19], v[4:5], off
	global_load_dwordx2 v[20:21], v[4:5], off offset:16
	v_mov_b32_e32 v24, v7
	v_mov_b32_e32 v26, v7
	v_mad_u64_u32 v[28:29], s[0:1], s16, v10, 0
	v_add_u32_e32 v7, 19, v42
	v_add_u32_e32 v25, 30, v42
	v_add_u32_e32 v27, 41, v42
	v_mov_b32_e32 v30, v29
	v_mad_u64_u32 v[32:33], s[0:1], s16, v7, 0
	v_mad_u64_u32 v[34:35], s[0:1], s16, v25, 0
	;; [unrolled: 1-line block ×3, first 2 shown]
	v_mov_b32_e32 v9, v11
	v_mov_b32_e32 v22, v11
	v_mad_u64_u32 v[10:11], s[0:1], s17, v10, v[30:31]
	v_mov_b32_e32 v30, v33
	v_mov_b32_e32 v38, v35
	;; [unrolled: 1-line block ×4, first 2 shown]
	v_mad_u64_u32 v[10:11], s[0:1], s17, v7, v[30:31]
	v_mad_u64_u32 v[30:31], s[0:1], s17, v25, v[38:39]
	;; [unrolled: 1-line block ×3, first 2 shown]
	v_mov_b32_e32 v33, v10
	v_mov_b32_e32 v35, v30
	;; [unrolled: 1-line block ×4, first 2 shown]
	v_lshl_add_u64 v[28:29], v[28:29], 3, v[2:3]
	v_lshl_add_u64 v[10:11], v[32:33], 3, v[2:3]
	;; [unrolled: 1-line block ×4, first 2 shown]
	v_mov_b32_e32 v1, v15
	v_mov_b32_e32 v14, v15
	;; [unrolled: 1-line block ×5, first 2 shown]
	s_waitcnt vmcnt(1)
	v_mov_b32_e32 v34, v18
	s_waitcnt vmcnt(0)
	v_mov_b32_e32 v33, v20
	v_mov_b32_e32 v35, v21
	;; [unrolled: 1-line block ×5, first 2 shown]
	v_pk_mul_f32 v[20:21], v[12:13], v[16:17] op_sel_hi:[0,1]
	v_mov_b32_e32 v32, v19
	v_pk_mul_f32 v[22:23], v[22:23], v[34:35]
	v_pk_mul_f32 v[8:9], v[8:9], v[18:19]
	v_pk_fma_f32 v[18:19], v[24:25], v[16:17], v[20:21] op_sel:[0,0,1] op_sel_hi:[1,1,0]
	v_pk_fma_f32 v[16:17], v[26:27], v[16:17], v[20:21] op_sel:[0,0,1] op_sel_hi:[0,1,0] neg_lo:[1,0,0] neg_hi:[1,0,0]
	v_pk_fma_f32 v[14:15], v[14:15], v[32:33], v[22:23]
	v_pk_fma_f32 v[0:1], v[0:1], v[36:37], v[8:9] neg_lo:[0,0,1] neg_hi:[0,0,1]
	v_mov_b32_e32 v7, v18
	v_mov_b32_e32 v12, v17
	v_pk_add_f32 v[6:7], v[6:7], v[14:15] neg_lo:[0,1] neg_hi:[0,1]
	v_pk_add_f32 v[0:1], v[12:13], v[0:1] neg_lo:[0,1] neg_hi:[0,1]
	v_mov_b32_e32 v19, v17
	v_mov_b32_e32 v8, v6
	;; [unrolled: 1-line block ×5, first 2 shown]
	v_pk_add_f32 v[14:15], v[0:1], v[6:7]
	v_pk_add_f32 v[0:1], v[0:1], v[6:7] neg_lo:[0,1] neg_hi:[0,1]
	v_pk_fma_f32 v[4:5], v[4:5], 2.0, v[8:9] op_sel_hi:[1,0,1] neg_lo:[0,0,1] neg_hi:[0,0,1]
	v_pk_fma_f32 v[6:7], v[18:19], 2.0, v[12:13] op_sel_hi:[1,0,1] neg_lo:[0,0,1] neg_hi:[0,0,1]
	v_mov_b32_e32 v15, v1
	v_pk_add_f32 v[0:1], v[4:5], v[6:7] neg_lo:[0,1] neg_hi:[0,1]
	v_pk_fma_f32 v[6:7], v[8:9], 2.0, v[14:15] op_sel_hi:[1,0,1] neg_lo:[0,0,1] neg_hi:[0,0,1]
	v_pk_fma_f32 v[4:5], v[4:5], 2.0, v[0:1] op_sel_hi:[1,0,1] neg_lo:[0,0,1] neg_hi:[0,0,1]
	global_store_dwordx2 v[28:29], v[4:5], off
	global_store_dwordx2 v[10:11], v[6:7], off
	;; [unrolled: 1-line block ×4, first 2 shown]
.LBB0_20:
	s_endpgm
	.section	.rodata,"a",@progbits
	.p2align	6, 0x0
	.amdhsa_kernel fft_rtc_back_len44_factors_11_4_wgs_64_tpt_4_halfLds_sp_op_CI_CI_sbrr_dirReg
		.amdhsa_group_segment_fixed_size 0
		.amdhsa_private_segment_fixed_size 0
		.amdhsa_kernarg_size 104
		.amdhsa_user_sgpr_count 2
		.amdhsa_user_sgpr_dispatch_ptr 0
		.amdhsa_user_sgpr_queue_ptr 0
		.amdhsa_user_sgpr_kernarg_segment_ptr 1
		.amdhsa_user_sgpr_dispatch_id 0
		.amdhsa_user_sgpr_kernarg_preload_length 0
		.amdhsa_user_sgpr_kernarg_preload_offset 0
		.amdhsa_user_sgpr_private_segment_size 0
		.amdhsa_uses_dynamic_stack 0
		.amdhsa_enable_private_segment 0
		.amdhsa_system_sgpr_workgroup_id_x 1
		.amdhsa_system_sgpr_workgroup_id_y 0
		.amdhsa_system_sgpr_workgroup_id_z 0
		.amdhsa_system_sgpr_workgroup_info 0
		.amdhsa_system_vgpr_workitem_id 0
		.amdhsa_next_free_vgpr 74
		.amdhsa_next_free_sgpr 40
		.amdhsa_accum_offset 76
		.amdhsa_reserve_vcc 1
		.amdhsa_float_round_mode_32 0
		.amdhsa_float_round_mode_16_64 0
		.amdhsa_float_denorm_mode_32 3
		.amdhsa_float_denorm_mode_16_64 3
		.amdhsa_dx10_clamp 1
		.amdhsa_ieee_mode 1
		.amdhsa_fp16_overflow 0
		.amdhsa_tg_split 0
		.amdhsa_exception_fp_ieee_invalid_op 0
		.amdhsa_exception_fp_denorm_src 0
		.amdhsa_exception_fp_ieee_div_zero 0
		.amdhsa_exception_fp_ieee_overflow 0
		.amdhsa_exception_fp_ieee_underflow 0
		.amdhsa_exception_fp_ieee_inexact 0
		.amdhsa_exception_int_div_zero 0
	.end_amdhsa_kernel
	.text
.Lfunc_end0:
	.size	fft_rtc_back_len44_factors_11_4_wgs_64_tpt_4_halfLds_sp_op_CI_CI_sbrr_dirReg, .Lfunc_end0-fft_rtc_back_len44_factors_11_4_wgs_64_tpt_4_halfLds_sp_op_CI_CI_sbrr_dirReg
                                        ; -- End function
	.section	.AMDGPU.csdata,"",@progbits
; Kernel info:
; codeLenInByte = 5572
; NumSgprs: 46
; NumVgprs: 74
; NumAgprs: 0
; TotalNumVgprs: 74
; ScratchSize: 0
; MemoryBound: 0
; FloatMode: 240
; IeeeMode: 1
; LDSByteSize: 0 bytes/workgroup (compile time only)
; SGPRBlocks: 5
; VGPRBlocks: 9
; NumSGPRsForWavesPerEU: 46
; NumVGPRsForWavesPerEU: 74
; AccumOffset: 76
; Occupancy: 6
; WaveLimiterHint : 1
; COMPUTE_PGM_RSRC2:SCRATCH_EN: 0
; COMPUTE_PGM_RSRC2:USER_SGPR: 2
; COMPUTE_PGM_RSRC2:TRAP_HANDLER: 0
; COMPUTE_PGM_RSRC2:TGID_X_EN: 1
; COMPUTE_PGM_RSRC2:TGID_Y_EN: 0
; COMPUTE_PGM_RSRC2:TGID_Z_EN: 0
; COMPUTE_PGM_RSRC2:TIDIG_COMP_CNT: 0
; COMPUTE_PGM_RSRC3_GFX90A:ACCUM_OFFSET: 18
; COMPUTE_PGM_RSRC3_GFX90A:TG_SPLIT: 0
	.text
	.p2alignl 6, 3212836864
	.fill 256, 4, 3212836864
	.type	__hip_cuid_6456fef8d7db9e92,@object ; @__hip_cuid_6456fef8d7db9e92
	.section	.bss,"aw",@nobits
	.globl	__hip_cuid_6456fef8d7db9e92
__hip_cuid_6456fef8d7db9e92:
	.byte	0                               ; 0x0
	.size	__hip_cuid_6456fef8d7db9e92, 1

	.ident	"AMD clang version 19.0.0git (https://github.com/RadeonOpenCompute/llvm-project roc-6.4.0 25133 c7fe45cf4b819c5991fe208aaa96edf142730f1d)"
	.section	".note.GNU-stack","",@progbits
	.addrsig
	.addrsig_sym __hip_cuid_6456fef8d7db9e92
	.amdgpu_metadata
---
amdhsa.kernels:
  - .agpr_count:     0
    .args:
      - .actual_access:  read_only
        .address_space:  global
        .offset:         0
        .size:           8
        .value_kind:     global_buffer
      - .offset:         8
        .size:           8
        .value_kind:     by_value
      - .actual_access:  read_only
        .address_space:  global
        .offset:         16
        .size:           8
        .value_kind:     global_buffer
      - .actual_access:  read_only
        .address_space:  global
        .offset:         24
        .size:           8
        .value_kind:     global_buffer
      - .actual_access:  read_only
        .address_space:  global
        .offset:         32
        .size:           8
        .value_kind:     global_buffer
      - .offset:         40
        .size:           8
        .value_kind:     by_value
      - .actual_access:  read_only
        .address_space:  global
        .offset:         48
        .size:           8
        .value_kind:     global_buffer
      - .actual_access:  read_only
        .address_space:  global
        .offset:         56
        .size:           8
        .value_kind:     global_buffer
      - .offset:         64
        .size:           4
        .value_kind:     by_value
      - .actual_access:  read_only
        .address_space:  global
        .offset:         72
        .size:           8
        .value_kind:     global_buffer
      - .actual_access:  read_only
        .address_space:  global
        .offset:         80
        .size:           8
        .value_kind:     global_buffer
      - .actual_access:  read_only
        .address_space:  global
        .offset:         88
        .size:           8
        .value_kind:     global_buffer
      - .actual_access:  write_only
        .address_space:  global
        .offset:         96
        .size:           8
        .value_kind:     global_buffer
    .group_segment_fixed_size: 0
    .kernarg_segment_align: 8
    .kernarg_segment_size: 104
    .language:       OpenCL C
    .language_version:
      - 2
      - 0
    .max_flat_workgroup_size: 64
    .name:           fft_rtc_back_len44_factors_11_4_wgs_64_tpt_4_halfLds_sp_op_CI_CI_sbrr_dirReg
    .private_segment_fixed_size: 0
    .sgpr_count:     46
    .sgpr_spill_count: 0
    .symbol:         fft_rtc_back_len44_factors_11_4_wgs_64_tpt_4_halfLds_sp_op_CI_CI_sbrr_dirReg.kd
    .uniform_work_group_size: 1
    .uses_dynamic_stack: false
    .vgpr_count:     74
    .vgpr_spill_count: 0
    .wavefront_size: 64
amdhsa.target:   amdgcn-amd-amdhsa--gfx950
amdhsa.version:
  - 1
  - 2
...

	.end_amdgpu_metadata
